;; amdgpu-corpus repo=ROCm/rocFFT kind=compiled arch=gfx1030 opt=O3
	.text
	.amdgcn_target "amdgcn-amd-amdhsa--gfx1030"
	.amdhsa_code_object_version 6
	.protected	fft_rtc_fwd_len2500_factors_10_5_10_5_wgs_250_tpt_250_halfLds_dp_op_CI_CI_unitstride_sbrr_R2C_dirReg ; -- Begin function fft_rtc_fwd_len2500_factors_10_5_10_5_wgs_250_tpt_250_halfLds_dp_op_CI_CI_unitstride_sbrr_R2C_dirReg
	.globl	fft_rtc_fwd_len2500_factors_10_5_10_5_wgs_250_tpt_250_halfLds_dp_op_CI_CI_unitstride_sbrr_R2C_dirReg
	.p2align	8
	.type	fft_rtc_fwd_len2500_factors_10_5_10_5_wgs_250_tpt_250_halfLds_dp_op_CI_CI_unitstride_sbrr_R2C_dirReg,@function
fft_rtc_fwd_len2500_factors_10_5_10_5_wgs_250_tpt_250_halfLds_dp_op_CI_CI_unitstride_sbrr_R2C_dirReg: ; @fft_rtc_fwd_len2500_factors_10_5_10_5_wgs_250_tpt_250_halfLds_dp_op_CI_CI_unitstride_sbrr_R2C_dirReg
; %bb.0:
	s_clause 0x2
	s_load_dwordx4 s[12:15], s[4:5], 0x0
	s_load_dwordx4 s[8:11], s[4:5], 0x58
	;; [unrolled: 1-line block ×3, first 2 shown]
	v_mul_u32_u24_e32 v1, 0x107, v0
	v_mov_b32_e32 v3, 0
	v_add_nc_u32_sdwa v5, s6, v1 dst_sel:DWORD dst_unused:UNUSED_PAD src0_sel:DWORD src1_sel:WORD_1
	v_mov_b32_e32 v1, 0
	v_mov_b32_e32 v6, v3
	v_mov_b32_e32 v2, 0
	s_waitcnt lgkmcnt(0)
	v_cmp_lt_u64_e64 s0, s[14:15], 2
	s_and_b32 vcc_lo, exec_lo, s0
	s_cbranch_vccnz .LBB0_8
; %bb.1:
	s_load_dwordx2 s[0:1], s[4:5], 0x10
	v_mov_b32_e32 v1, 0
	v_mov_b32_e32 v2, 0
	s_add_u32 s2, s18, 8
	s_addc_u32 s3, s19, 0
	s_add_u32 s6, s16, 8
	s_addc_u32 s7, s17, 0
	v_mov_b32_e32 v9, v2
	v_mov_b32_e32 v8, v1
	s_mov_b64 s[22:23], 1
	s_waitcnt lgkmcnt(0)
	s_add_u32 s20, s0, 8
	s_addc_u32 s21, s1, 0
.LBB0_2:                                ; =>This Inner Loop Header: Depth=1
	s_load_dwordx2 s[24:25], s[20:21], 0x0
                                        ; implicit-def: $vgpr12_vgpr13
	s_mov_b32 s0, exec_lo
	s_waitcnt lgkmcnt(0)
	v_or_b32_e32 v4, s25, v6
	v_cmpx_ne_u64_e32 0, v[3:4]
	s_xor_b32 s1, exec_lo, s0
	s_cbranch_execz .LBB0_4
; %bb.3:                                ;   in Loop: Header=BB0_2 Depth=1
	v_cvt_f32_u32_e32 v4, s24
	v_cvt_f32_u32_e32 v7, s25
	s_sub_u32 s0, 0, s24
	s_subb_u32 s26, 0, s25
	v_fmac_f32_e32 v4, 0x4f800000, v7
	v_rcp_f32_e32 v4, v4
	v_mul_f32_e32 v4, 0x5f7ffffc, v4
	v_mul_f32_e32 v7, 0x2f800000, v4
	v_trunc_f32_e32 v7, v7
	v_fmac_f32_e32 v4, 0xcf800000, v7
	v_cvt_u32_f32_e32 v7, v7
	v_cvt_u32_f32_e32 v4, v4
	v_mul_lo_u32 v10, s0, v7
	v_mul_hi_u32 v11, s0, v4
	v_mul_lo_u32 v12, s26, v4
	v_add_nc_u32_e32 v10, v11, v10
	v_mul_lo_u32 v11, s0, v4
	v_add_nc_u32_e32 v10, v10, v12
	v_mul_hi_u32 v12, v4, v11
	v_mul_lo_u32 v13, v4, v10
	v_mul_hi_u32 v14, v4, v10
	v_mul_hi_u32 v15, v7, v11
	v_mul_lo_u32 v11, v7, v11
	v_mul_hi_u32 v16, v7, v10
	v_mul_lo_u32 v10, v7, v10
	v_add_co_u32 v12, vcc_lo, v12, v13
	v_add_co_ci_u32_e32 v13, vcc_lo, 0, v14, vcc_lo
	v_add_co_u32 v11, vcc_lo, v12, v11
	v_add_co_ci_u32_e32 v11, vcc_lo, v13, v15, vcc_lo
	v_add_co_ci_u32_e32 v12, vcc_lo, 0, v16, vcc_lo
	v_add_co_u32 v10, vcc_lo, v11, v10
	v_add_co_ci_u32_e32 v11, vcc_lo, 0, v12, vcc_lo
	v_add_co_u32 v4, vcc_lo, v4, v10
	v_add_co_ci_u32_e32 v7, vcc_lo, v7, v11, vcc_lo
	v_mul_hi_u32 v10, s0, v4
	v_mul_lo_u32 v12, s26, v4
	v_mul_lo_u32 v11, s0, v7
	v_add_nc_u32_e32 v10, v10, v11
	v_mul_lo_u32 v11, s0, v4
	v_add_nc_u32_e32 v10, v10, v12
	v_mul_hi_u32 v12, v4, v11
	v_mul_lo_u32 v13, v4, v10
	v_mul_hi_u32 v14, v4, v10
	v_mul_hi_u32 v15, v7, v11
	v_mul_lo_u32 v11, v7, v11
	v_mul_hi_u32 v16, v7, v10
	v_mul_lo_u32 v10, v7, v10
	v_add_co_u32 v12, vcc_lo, v12, v13
	v_add_co_ci_u32_e32 v13, vcc_lo, 0, v14, vcc_lo
	v_add_co_u32 v11, vcc_lo, v12, v11
	v_add_co_ci_u32_e32 v11, vcc_lo, v13, v15, vcc_lo
	v_add_co_ci_u32_e32 v12, vcc_lo, 0, v16, vcc_lo
	v_add_co_u32 v10, vcc_lo, v11, v10
	v_add_co_ci_u32_e32 v11, vcc_lo, 0, v12, vcc_lo
	v_add_co_u32 v4, vcc_lo, v4, v10
	v_add_co_ci_u32_e32 v7, vcc_lo, v7, v11, vcc_lo
	v_mul_hi_u32 v16, v5, v4
	v_mad_u64_u32 v[12:13], null, v6, v4, 0
	v_mad_u64_u32 v[10:11], null, v5, v7, 0
	;; [unrolled: 1-line block ×3, first 2 shown]
	v_add_co_u32 v4, vcc_lo, v16, v10
	v_add_co_ci_u32_e32 v7, vcc_lo, 0, v11, vcc_lo
	v_add_co_u32 v4, vcc_lo, v4, v12
	v_add_co_ci_u32_e32 v4, vcc_lo, v7, v13, vcc_lo
	v_add_co_ci_u32_e32 v7, vcc_lo, 0, v15, vcc_lo
	v_add_co_u32 v4, vcc_lo, v4, v14
	v_add_co_ci_u32_e32 v7, vcc_lo, 0, v7, vcc_lo
	v_mul_lo_u32 v12, s25, v4
	v_mad_u64_u32 v[10:11], null, s24, v4, 0
	v_mul_lo_u32 v13, s24, v7
	v_sub_co_u32 v10, vcc_lo, v5, v10
	v_add3_u32 v11, v11, v13, v12
	v_sub_nc_u32_e32 v12, v6, v11
	v_subrev_co_ci_u32_e64 v12, s0, s25, v12, vcc_lo
	v_add_co_u32 v13, s0, v4, 2
	v_add_co_ci_u32_e64 v14, s0, 0, v7, s0
	v_sub_co_u32 v15, s0, v10, s24
	v_sub_co_ci_u32_e32 v11, vcc_lo, v6, v11, vcc_lo
	v_subrev_co_ci_u32_e64 v12, s0, 0, v12, s0
	v_cmp_le_u32_e32 vcc_lo, s24, v15
	v_cmp_eq_u32_e64 s0, s25, v11
	v_cndmask_b32_e64 v15, 0, -1, vcc_lo
	v_cmp_le_u32_e32 vcc_lo, s25, v12
	v_cndmask_b32_e64 v16, 0, -1, vcc_lo
	v_cmp_le_u32_e32 vcc_lo, s24, v10
	;; [unrolled: 2-line block ×3, first 2 shown]
	v_cndmask_b32_e64 v17, 0, -1, vcc_lo
	v_cmp_eq_u32_e32 vcc_lo, s25, v12
	v_cndmask_b32_e64 v10, v17, v10, s0
	v_cndmask_b32_e32 v12, v16, v15, vcc_lo
	v_add_co_u32 v15, vcc_lo, v4, 1
	v_add_co_ci_u32_e32 v16, vcc_lo, 0, v7, vcc_lo
	v_cmp_ne_u32_e32 vcc_lo, 0, v12
	v_cndmask_b32_e32 v11, v16, v14, vcc_lo
	v_cndmask_b32_e32 v12, v15, v13, vcc_lo
	v_cmp_ne_u32_e32 vcc_lo, 0, v10
	v_cndmask_b32_e32 v13, v7, v11, vcc_lo
	v_cndmask_b32_e32 v12, v4, v12, vcc_lo
.LBB0_4:                                ;   in Loop: Header=BB0_2 Depth=1
	s_andn2_saveexec_b32 s0, s1
	s_cbranch_execz .LBB0_6
; %bb.5:                                ;   in Loop: Header=BB0_2 Depth=1
	v_cvt_f32_u32_e32 v4, s24
	s_sub_i32 s1, 0, s24
	v_mov_b32_e32 v13, v3
	v_rcp_iflag_f32_e32 v4, v4
	v_mul_f32_e32 v4, 0x4f7ffffe, v4
	v_cvt_u32_f32_e32 v4, v4
	v_mul_lo_u32 v7, s1, v4
	v_mul_hi_u32 v7, v4, v7
	v_add_nc_u32_e32 v4, v4, v7
	v_mul_hi_u32 v4, v5, v4
	v_mul_lo_u32 v7, v4, s24
	v_add_nc_u32_e32 v10, 1, v4
	v_sub_nc_u32_e32 v7, v5, v7
	v_subrev_nc_u32_e32 v11, s24, v7
	v_cmp_le_u32_e32 vcc_lo, s24, v7
	v_cndmask_b32_e32 v7, v7, v11, vcc_lo
	v_cndmask_b32_e32 v4, v4, v10, vcc_lo
	v_cmp_le_u32_e32 vcc_lo, s24, v7
	v_add_nc_u32_e32 v10, 1, v4
	v_cndmask_b32_e32 v12, v4, v10, vcc_lo
.LBB0_6:                                ;   in Loop: Header=BB0_2 Depth=1
	s_or_b32 exec_lo, exec_lo, s0
	v_mul_lo_u32 v4, v13, s24
	v_mul_lo_u32 v7, v12, s25
	s_load_dwordx2 s[0:1], s[6:7], 0x0
	v_mad_u64_u32 v[10:11], null, v12, s24, 0
	s_load_dwordx2 s[24:25], s[2:3], 0x0
	s_add_u32 s22, s22, 1
	s_addc_u32 s23, s23, 0
	s_add_u32 s2, s2, 8
	s_addc_u32 s3, s3, 0
	s_add_u32 s6, s6, 8
	v_add3_u32 v4, v11, v7, v4
	v_sub_co_u32 v5, vcc_lo, v5, v10
	s_addc_u32 s7, s7, 0
	s_add_u32 s20, s20, 8
	v_sub_co_ci_u32_e32 v4, vcc_lo, v6, v4, vcc_lo
	s_addc_u32 s21, s21, 0
	s_waitcnt lgkmcnt(0)
	v_mul_lo_u32 v6, s0, v4
	v_mul_lo_u32 v7, s1, v5
	v_mad_u64_u32 v[1:2], null, s0, v5, v[1:2]
	v_mul_lo_u32 v4, s24, v4
	v_mul_lo_u32 v10, s25, v5
	v_mad_u64_u32 v[8:9], null, s24, v5, v[8:9]
	v_cmp_ge_u64_e64 s0, s[22:23], s[14:15]
	v_add3_u32 v2, v7, v2, v6
	v_add3_u32 v9, v10, v9, v4
	s_and_b32 vcc_lo, exec_lo, s0
	s_cbranch_vccnz .LBB0_9
; %bb.7:                                ;   in Loop: Header=BB0_2 Depth=1
	v_mov_b32_e32 v5, v12
	v_mov_b32_e32 v6, v13
	s_branch .LBB0_2
.LBB0_8:
	v_mov_b32_e32 v9, v2
	v_mov_b32_e32 v13, v6
	;; [unrolled: 1-line block ×4, first 2 shown]
.LBB0_9:
	s_load_dwordx2 s[0:1], s[4:5], 0x28
	v_mul_hi_u32 v3, 0x10624de, v0
	s_lshl_b64 s[4:5], s[14:15], 3
                                        ; implicit-def: $vgpr10
                                        ; implicit-def: $vgpr14
	s_add_u32 s2, s18, s4
	s_addc_u32 s3, s19, s5
	s_waitcnt lgkmcnt(0)
	v_cmp_gt_u64_e32 vcc_lo, s[0:1], v[12:13]
	v_cmp_le_u64_e64 s0, s[0:1], v[12:13]
	s_and_saveexec_b32 s1, s0
	s_xor_b32 s0, exec_lo, s1
; %bb.10:
	v_mul_u32_u24_e32 v1, 0xfa, v3
                                        ; implicit-def: $vgpr3
	v_sub_nc_u32_e32 v10, v0, v1
                                        ; implicit-def: $vgpr0
                                        ; implicit-def: $vgpr1_vgpr2
	v_add_nc_u32_e32 v14, 0xfa, v10
; %bb.11:
	s_andn2_saveexec_b32 s1, s0
	s_cbranch_execz .LBB0_13
; %bb.12:
	s_add_u32 s4, s16, s4
	s_addc_u32 s5, s17, s5
	v_lshlrev_b64 v[1:2], 4, v[1:2]
	s_load_dwordx2 s[4:5], s[4:5], 0x0
	s_waitcnt lgkmcnt(0)
	v_mul_lo_u32 v6, s5, v12
	v_mul_lo_u32 v7, s4, v13
	v_mad_u64_u32 v[4:5], null, s4, v12, 0
	v_add3_u32 v5, v5, v7, v6
	v_mul_u32_u24_e32 v6, 0xfa, v3
	v_lshlrev_b64 v[3:4], 4, v[4:5]
	v_sub_nc_u32_e32 v10, v0, v6
	v_lshlrev_b32_e32 v11, 4, v10
	v_add_co_u32 v0, s0, s8, v3
	v_add_co_ci_u32_e64 v3, s0, s9, v4, s0
	v_add_co_u32 v0, s0, v0, v1
	v_add_co_ci_u32_e64 v1, s0, v3, v2, s0
	;; [unrolled: 2-line block ×3, first 2 shown]
	v_add_nc_u32_e32 v11, 0, v11
	v_add_co_u32 v4, s0, 0x800, v0
	v_add_co_ci_u32_e64 v5, s0, 0, v1, s0
	v_add_co_u32 v14, s0, 0x1800, v0
	v_add_co_ci_u32_e64 v15, s0, 0, v1, s0
	;; [unrolled: 2-line block ×9, first 2 shown]
	s_clause 0x9
	global_load_dwordx4 v[0:3], v[0:1], off
	global_load_dwordx4 v[4:7], v[4:5], off offset:1952
	global_load_dwordx4 v[15:18], v[14:15], off offset:1856
	;; [unrolled: 1-line block ×9, first 2 shown]
	v_add_nc_u32_e32 v14, 0xfa, v10
	s_waitcnt vmcnt(9)
	ds_write_b128 v11, v[0:3]
	s_waitcnt vmcnt(8)
	ds_write_b128 v11, v[4:7] offset:4000
	s_waitcnt vmcnt(7)
	ds_write_b128 v11, v[15:18] offset:8000
	;; [unrolled: 2-line block ×9, first 2 shown]
.LBB0_13:
	s_or_b32 exec_lo, exec_lo, s1
	v_lshlrev_b32_e32 v11, 4, v10
	s_load_dwordx2 s[2:3], s[2:3], 0x0
	s_waitcnt lgkmcnt(0)
	s_barrier
	buffer_gl0_inv
	v_add_nc_u32_e32 v27, 0, v11
	s_mov_b32 s4, 0x134454ff
	s_mov_b32 s5, 0x3fee6f0e
	;; [unrolled: 1-line block ×4, first 2 shown]
	ds_read_b128 v[15:18], v27 offset:20000
	ds_read_b128 v[19:22], v27 offset:28000
	;; [unrolled: 1-line block ×3, first 2 shown]
	ds_read_b128 v[28:31], v27
	ds_read_b128 v[32:35], v27 offset:24000
	ds_read_b128 v[36:39], v27 offset:16000
	;; [unrolled: 1-line block ×6, first 2 shown]
	s_mov_b32 s8, 0x4755a5e
	s_mov_b32 s9, 0x3fe2cf23
	;; [unrolled: 1-line block ×8, first 2 shown]
	s_waitcnt lgkmcnt(0)
	s_barrier
	buffer_gl0_inv
	v_add_f64 v[48:49], v[15:16], v[19:20]
	v_add_f64 v[74:75], v[17:18], v[21:22]
	;; [unrolled: 1-line block ×11, first 2 shown]
	v_add_f64 v[80:81], v[42:43], -v[6:7]
	v_add_f64 v[82:83], v[40:41], -v[15:16]
	;; [unrolled: 1-line block ×7, first 2 shown]
	v_add_f64 v[78:79], v[46:47], v[42:43]
	v_add_f64 v[40:41], v[40:41], -v[4:5]
	v_add_f64 v[62:63], v[25:26], -v[2:3]
	;; [unrolled: 1-line block ×3, first 2 shown]
	v_fma_f64 v[48:49], v[48:49], -0.5, v[44:45]
	v_add_f64 v[25:26], v[38:39], -v[25:26]
	v_add_f64 v[68:69], v[23:24], -v[36:37]
	;; [unrolled: 1-line block ×3, first 2 shown]
	v_fma_f64 v[54:55], v[54:55], -0.5, v[28:29]
	v_fma_f64 v[28:29], v[56:57], -0.5, v[28:29]
	;; [unrolled: 1-line block ×6, first 2 shown]
	v_add_f64 v[60:61], v[42:43], -v[17:18]
	v_add_f64 v[42:43], v[17:18], -v[42:43]
	v_fma_f64 v[46:47], v[74:75], -0.5, v[46:47]
	v_add_f64 v[66:67], v[21:22], -v[6:7]
	v_add_f64 v[64:65], v[38:39], -v[34:35]
	;; [unrolled: 1-line block ×3, first 2 shown]
	v_add_f64 v[38:39], v[52:53], v[38:39]
	v_add_f64 v[82:83], v[82:83], v[90:91]
	;; [unrolled: 1-line block ×3, first 2 shown]
	v_add_f64 v[23:24], v[23:24], -v[0:1]
	v_add_f64 v[50:51], v[50:51], v[36:37]
	v_add_f64 v[36:37], v[36:37], -v[32:33]
	v_fma_f64 v[52:53], v[80:81], s[4:5], v[48:49]
	v_fma_f64 v[48:49], v[80:81], s[6:7], v[48:49]
	v_add_f64 v[15:16], v[76:77], v[15:16]
	v_add_f64 v[17:18], v[78:79], v[17:18]
	v_mov_b32_e32 v99, 9
	v_fma_f64 v[90:91], v[86:87], s[6:7], v[44:45]
	v_fma_f64 v[92:93], v[88:89], s[4:5], v[58:59]
	;; [unrolled: 1-line block ×4, first 2 shown]
	v_add_f64 v[42:43], v[42:43], v[66:67]
	v_fma_f64 v[66:67], v[40:41], s[4:5], v[46:47]
	v_add_f64 v[60:61], v[60:61], v[74:75]
	v_add_f64 v[74:75], v[0:1], -v[32:33]
	v_fma_f64 v[46:47], v[40:41], s[6:7], v[46:47]
	v_fma_f64 v[76:77], v[64:65], s[6:7], v[28:29]
	;; [unrolled: 1-line block ×7, first 2 shown]
	v_add_f64 v[86:87], v[32:33], -v[0:1]
	v_add_f64 v[32:33], v[50:51], v[32:33]
	v_add_f64 v[19:20], v[15:16], v[19:20]
	;; [unrolled: 1-line block ×3, first 2 shown]
	v_and_b32_e32 v15, 0xff, v10
	v_fma_f64 v[90:91], v[80:81], s[8:9], v[90:91]
	v_fma_f64 v[92:93], v[40:41], s[16:17], v[92:93]
	;; [unrolled: 1-line block ×3, first 2 shown]
	v_add_f64 v[80:81], v[2:3], -v[34:35]
	v_fma_f64 v[40:41], v[40:41], s[8:9], v[58:59]
	v_fma_f64 v[58:59], v[88:89], s[8:9], v[66:67]
	v_add_f64 v[66:67], v[34:35], -v[2:3]
	v_add_f64 v[68:69], v[68:69], v[74:75]
	v_fma_f64 v[74:75], v[62:63], s[4:5], v[54:55]
	v_fma_f64 v[54:55], v[62:63], s[6:7], v[54:55]
	;; [unrolled: 1-line block ×3, first 2 shown]
	v_add_f64 v[34:35], v[38:39], v[34:35]
	v_fma_f64 v[50:51], v[62:63], s[8:9], v[76:77]
	v_fma_f64 v[52:53], v[82:83], s[14:15], v[52:53]
	;; [unrolled: 1-line block ×3, first 2 shown]
	v_add_f64 v[70:71], v[70:71], v[86:87]
	v_fma_f64 v[28:29], v[62:63], s[16:17], v[28:29]
	v_add_f64 v[32:33], v[32:33], v[0:1]
	v_add_f64 v[18:19], v[19:20], v[4:5]
	;; [unrolled: 1-line block ×3, first 2 shown]
	v_fma_f64 v[82:83], v[84:85], s[14:15], v[90:91]
	v_fma_f64 v[86:87], v[42:43], s[14:15], v[92:93]
	;; [unrolled: 1-line block ×3, first 2 shown]
	v_add_f64 v[72:73], v[72:73], v[80:81]
	v_fma_f64 v[80:81], v[36:37], s[4:5], v[30:31]
	v_fma_f64 v[30:31], v[36:37], s[6:7], v[30:31]
	;; [unrolled: 1-line block ×4, first 2 shown]
	v_add_f64 v[25:26], v[25:26], v[66:67]
	v_mul_lo_u16 v0, 0xcd, v15
	v_fma_f64 v[21:22], v[64:65], s[8:9], v[74:75]
	v_fma_f64 v[38:39], v[64:65], s[16:17], v[54:55]
	;; [unrolled: 1-line block ×5, first 2 shown]
	v_mul_f64 v[56:57], v[52:53], s[0:1]
	v_mul_f64 v[52:53], v[52:53], s[16:17]
	v_add_f64 v[34:35], v[34:35], v[2:3]
	v_fma_f64 v[50:51], v[70:71], s[14:15], v[50:51]
	v_fma_f64 v[70:71], v[70:71], s[14:15], v[28:29]
	v_add_f64 v[3:4], v[32:33], v[18:19]
	v_add_f64 v[16:17], v[32:33], -v[18:19]
	v_mul_f64 v[64:65], v[82:83], s[6:7]
	v_mul_f64 v[58:59], v[86:87], s[4:5]
	;; [unrolled: 1-line block ×3, first 2 shown]
	v_lshrrev_b16 v1, 11, v0
	v_fma_f64 v[62:63], v[23:24], s[16:17], v[80:81]
	v_fma_f64 v[23:24], v[23:24], s[8:9], v[30:31]
	v_mul_f64 v[66:67], v[40:41], s[14:15]
	v_mul_f64 v[30:31], v[48:49], s[0:1]
	;; [unrolled: 1-line block ×3, first 2 shown]
	v_mul_lo_u16 v0, v1, 10
	v_fma_f64 v[78:79], v[68:69], s[14:15], v[21:22]
	v_fma_f64 v[68:69], v[68:69], s[14:15], v[38:39]
	;; [unrolled: 1-line block ×4, first 2 shown]
	v_mov_b32_e32 v7, 6
	v_fma_f64 v[36:37], v[46:47], s[8:9], v[56:57]
	v_sub_nc_u16 v2, v10, v0
	v_add_f64 v[5:6], v[34:35], v[76:77]
	v_add_f64 v[18:19], v[34:35], -v[76:77]
	v_mad_u32_u24 v0, 0x90, v10, v27
	v_fma_f64 v[56:57], v[82:83], s[14:15], v[58:59]
	v_fma_f64 v[58:59], v[40:41], s[4:5], -v[60:61]
	v_fma_f64 v[40:41], v[46:47], s[0:1], v[52:53]
	v_fma_f64 v[46:47], v[25:26], s[14:15], v[62:63]
	;; [unrolled: 1-line block ×4, first 2 shown]
	v_fma_f64 v[62:63], v[44:45], s[6:7], -v[66:67]
	v_fma_f64 v[52:53], v[42:43], s[8:9], -v[30:31]
	v_fma_f64 v[64:65], v[48:49], s[16:17], -v[74:75]
	v_add_f64 v[20:21], v[78:79], v[36:37]
	v_add_f64 v[36:37], v[78:79], -v[36:37]
	v_add_f64 v[28:29], v[50:51], v[56:57]
	v_add_f64 v[32:33], v[70:71], v[58:59]
	;; [unrolled: 1-line block ×3, first 2 shown]
	v_add_f64 v[38:39], v[38:39], -v[40:41]
	v_add_f64 v[30:31], v[46:47], v[60:61]
	v_add_f64 v[44:45], v[50:51], -v[56:57]
	v_add_f64 v[34:35], v[24:25], v[62:63]
	v_add_f64 v[40:41], v[68:69], v[52:53]
	;; [unrolled: 1-line block ×3, first 2 shown]
	v_add_f64 v[46:47], v[46:47], -v[60:61]
	v_add_f64 v[48:49], v[70:71], -v[58:59]
	;; [unrolled: 1-line block ×5, first 2 shown]
	v_mov_b32_e32 v24, 0xcccd
	v_lshlrev_b32_sdwa v25, v7, v2 dst_sel:DWORD dst_unused:UNUSED_PAD src0_sel:DWORD src1_sel:BYTE_0
	ds_write_b128 v0, v[3:6]
	ds_write_b128 v0, v[16:19] offset:80
	ds_write_b128 v0, v[20:23] offset:16
	;; [unrolled: 1-line block ×9, first 2 shown]
	v_mul_u32_u24_sdwa v0, v14, v24 dst_sel:DWORD dst_unused:UNUSED_PAD src0_sel:WORD_0 src1_sel:DWORD
	s_waitcnt lgkmcnt(0)
	s_barrier
	buffer_gl0_inv
	s_clause 0x2
	global_load_dwordx4 v[16:19], v25, s[12:13]
	global_load_dwordx4 v[20:23], v25, s[12:13] offset:16
	global_load_dwordx4 v[29:32], v25, s[12:13] offset:32
	v_lshrrev_b32_e32 v3, 19, v0
	v_lshl_add_u32 v28, v14, 4, 0
	v_mul_lo_u16 v0, v3, 10
	v_mul_u32_u24_e32 v3, 0x320, v3
	v_sub_nc_u16 v4, v14, v0
	v_lshlrev_b32_sdwa v0, v7, v4 dst_sel:DWORD dst_unused:UNUSED_PAD src0_sel:DWORD src1_sel:WORD_0
	s_clause 0x4
	global_load_dwordx4 v[33:36], v25, s[12:13] offset:48
	global_load_dwordx4 v[37:40], v0, s[12:13]
	global_load_dwordx4 v[41:44], v0, s[12:13] offset:16
	global_load_dwordx4 v[45:48], v0, s[12:13] offset:32
	;; [unrolled: 1-line block ×3, first 2 shown]
	ds_read_b128 v[53:56], v27 offset:8000
	ds_read_b128 v[57:60], v27 offset:16000
	;; [unrolled: 1-line block ×7, first 2 shown]
	ds_read_b128 v[81:84], v27
	v_mul_lo_u16 v0, v15, 41
	v_mov_b32_e32 v7, 4
	v_lshrrev_b16 v0, 11, v0
	v_lshlrev_b32_sdwa v2, v7, v2 dst_sel:DWORD dst_unused:UNUSED_PAD src0_sel:DWORD src1_sel:BYTE_0
	v_lshlrev_b32_sdwa v4, v7, v4 dst_sel:DWORD dst_unused:UNUSED_PAD src0_sel:DWORD src1_sel:WORD_0
	s_waitcnt vmcnt(7) lgkmcnt(7)
	v_mul_f64 v[5:6], v[55:56], v[18:19]
	v_mul_f64 v[18:19], v[53:54], v[18:19]
	s_waitcnt vmcnt(6) lgkmcnt(6)
	v_mul_f64 v[85:86], v[59:60], v[22:23]
	v_mul_f64 v[87:88], v[57:58], v[22:23]
	;; [unrolled: 3-line block ×3, first 2 shown]
	ds_read_b128 v[22:25], v27 offset:28000
	v_fma_f64 v[5:6], v[53:54], v[16:17], -v[5:6]
	v_fma_f64 v[53:54], v[55:56], v[16:17], v[18:19]
	ds_read_b128 v[16:19], v28
	s_waitcnt vmcnt(4) lgkmcnt(5)
	v_mul_f64 v[55:56], v[71:72], v[35:36]
	v_mul_f64 v[35:36], v[69:70], v[35:36]
	v_fma_f64 v[57:58], v[57:58], v[20:21], -v[85:86]
	v_fma_f64 v[20:21], v[59:60], v[20:21], v[87:88]
	s_waitcnt vmcnt(3)
	v_mul_f64 v[59:60], v[67:68], v[39:40]
	v_mul_f64 v[39:40], v[65:66], v[39:40]
	s_waitcnt vmcnt(2) lgkmcnt(4)
	v_mul_f64 v[85:86], v[75:76], v[43:44]
	v_mul_f64 v[43:44], v[73:74], v[43:44]
	v_fma_f64 v[61:62], v[61:62], v[29:30], -v[89:90]
	v_fma_f64 v[29:30], v[63:64], v[29:30], v[31:32]
	s_waitcnt vmcnt(1) lgkmcnt(1)
	v_mul_f64 v[31:32], v[24:25], v[47:48]
	s_waitcnt vmcnt(0)
	v_mul_f64 v[63:64], v[79:80], v[51:52]
	v_mul_f64 v[47:48], v[22:23], v[47:48]
	;; [unrolled: 1-line block ×3, first 2 shown]
	s_waitcnt lgkmcnt(0)
	s_barrier
	buffer_gl0_inv
	v_fma_f64 v[55:56], v[69:70], v[33:34], -v[55:56]
	v_fma_f64 v[33:34], v[71:72], v[33:34], v[35:36]
	v_add_f64 v[71:72], v[81:82], v[5:6]
	v_add_f64 v[89:90], v[20:21], -v[53:54]
	v_fma_f64 v[35:36], v[65:66], v[37:38], -v[59:60]
	v_fma_f64 v[37:38], v[67:68], v[37:38], v[39:40]
	v_fma_f64 v[39:40], v[73:74], v[41:42], -v[85:86]
	v_fma_f64 v[41:42], v[75:76], v[41:42], v[43:44]
	v_add_f64 v[59:60], v[83:84], v[53:54]
	v_add_f64 v[73:74], v[5:6], -v[57:58]
	v_fma_f64 v[22:23], v[22:23], v[45:46], -v[31:32]
	v_fma_f64 v[31:32], v[77:78], v[49:50], -v[63:64]
	v_fma_f64 v[24:25], v[24:25], v[45:46], v[47:48]
	v_fma_f64 v[43:44], v[79:80], v[49:50], v[51:52]
	v_add_f64 v[45:46], v[57:58], v[61:62]
	v_add_f64 v[49:50], v[20:21], v[29:30]
	v_add_f64 v[77:78], v[57:58], -v[5:6]
	v_add_f64 v[85:86], v[53:54], -v[20:21]
	;; [unrolled: 1-line block ×4, first 2 shown]
	v_add_f64 v[47:48], v[5:6], v[55:56]
	v_add_f64 v[51:52], v[53:54], v[33:34]
	v_add_f64 v[87:88], v[33:34], -v[29:30]
	v_add_f64 v[91:92], v[29:30], -v[33:34]
	v_add_f64 v[93:94], v[16:17], v[35:36]
	v_add_f64 v[95:96], v[18:19], v[37:38]
	v_add_f64 v[53:54], v[53:54], -v[33:34]
	v_add_f64 v[59:60], v[59:60], v[20:21]
	v_add_f64 v[63:64], v[39:40], v[22:23]
	;; [unrolled: 1-line block ×5, first 2 shown]
	v_fma_f64 v[45:46], v[45:46], -0.5, v[81:82]
	v_fma_f64 v[49:50], v[49:50], -0.5, v[83:84]
	v_add_f64 v[5:6], v[5:6], -v[55:56]
	v_add_f64 v[71:72], v[71:72], v[57:58]
	v_add_f64 v[20:21], v[20:21], -v[29:30]
	v_add_f64 v[57:58], v[57:58], -v[61:62]
	v_add_f64 v[73:74], v[73:74], v[75:76]
	v_add_f64 v[75:76], v[41:42], -v[37:38]
	v_add_f64 v[77:78], v[77:78], v[79:80]
	v_add_f64 v[79:80], v[24:25], -v[43:44]
	v_fma_f64 v[47:48], v[47:48], -0.5, v[81:82]
	v_fma_f64 v[51:52], v[51:52], -0.5, v[83:84]
	v_add_f64 v[83:84], v[39:40], -v[35:36]
	v_add_f64 v[81:82], v[35:36], -v[39:40]
	v_add_f64 v[85:86], v[85:86], v[87:88]
	v_add_f64 v[87:88], v[37:38], -v[41:42]
	v_fma_f64 v[63:64], v[63:64], -0.5, v[16:17]
	v_fma_f64 v[16:17], v[65:66], -0.5, v[16:17]
	;; [unrolled: 1-line block ×4, first 2 shown]
	v_add_f64 v[69:70], v[22:23], -v[31:32]
	v_add_f64 v[67:68], v[31:32], -v[22:23]
	v_add_f64 v[89:90], v[89:90], v[91:92]
	v_add_f64 v[91:92], v[43:44], -v[24:25]
	v_add_f64 v[93:94], v[93:94], v[39:40]
	v_add_f64 v[95:96], v[95:96], v[41:42]
	v_add_f64 v[41:42], v[41:42], -v[24:25]
	v_add_f64 v[39:40], v[39:40], -v[22:23]
	;; [unrolled: 1-line block ×4, first 2 shown]
	v_add_f64 v[59:60], v[59:60], v[29:30]
	v_add_f64 v[75:76], v[75:76], v[79:80]
	v_fma_f64 v[79:80], v[53:54], s[4:5], v[45:46]
	v_fma_f64 v[29:30], v[5:6], s[6:7], v[49:50]
	v_add_f64 v[61:62], v[71:72], v[61:62]
	v_fma_f64 v[49:50], v[5:6], s[4:5], v[49:50]
	v_fma_f64 v[71:72], v[20:21], s[6:7], v[47:48]
	;; [unrolled: 1-line block ×4, first 2 shown]
	v_add_f64 v[69:70], v[83:84], v[69:70]
	v_fma_f64 v[83:84], v[57:58], s[4:5], v[51:52]
	v_fma_f64 v[51:52], v[57:58], s[6:7], v[51:52]
	v_add_f64 v[67:68], v[81:82], v[67:68]
	v_add_f64 v[81:82], v[87:88], v[91:92]
	;; [unrolled: 1-line block ×4, first 2 shown]
	v_fma_f64 v[87:88], v[41:42], s[6:7], v[16:17]
	v_fma_f64 v[91:92], v[39:40], s[4:5], v[18:19]
	;; [unrolled: 1-line block ×14, first 2 shown]
	v_mov_b32_e32 v19, 0x320
	v_mul_lo_u16 v20, v0, 50
	v_fma_f64 v[71:72], v[5:6], s[16:17], v[83:84]
	v_fma_f64 v[5:6], v[5:6], s[8:9], v[51:52]
	v_mul_u32_u24_sdwa v1, v1, v19 dst_sel:DWORD dst_unused:UNUSED_PAD src0_sel:WORD_0 src1_sel:DWORD
	v_sub_nc_u16 v29, v10, v20
	v_add_f64 v[19:20], v[22:23], v[31:32]
	v_fma_f64 v[51:52], v[37:38], s[8:9], v[87:88]
	v_fma_f64 v[53:54], v[35:36], s[16:17], v[91:92]
	;; [unrolled: 1-line block ×8, first 2 shown]
	v_add_f64 v[17:18], v[59:60], v[33:34]
	v_add_f64 v[15:16], v[61:62], v[55:56]
	;; [unrolled: 1-line block ×3, first 2 shown]
	v_fma_f64 v[23:24], v[73:74], s[14:15], v[79:80]
	v_fma_f64 v[25:26], v[85:86], s[14:15], v[97:98]
	;; [unrolled: 1-line block ×8, first 2 shown]
	v_mul_u32_u24_sdwa v5, v29, v99 dst_sel:DWORD dst_unused:UNUSED_PAD src0_sel:BYTE_0 src1_sel:DWORD
	v_add3_u32 v1, 0, v1, v2
	v_add3_u32 v2, 0, v3, v4
	v_fma_f64 v[42:43], v[69:70], s[14:15], v[51:52]
	v_fma_f64 v[44:45], v[75:76], s[14:15], v[53:54]
	;; [unrolled: 1-line block ×8, first 2 shown]
	v_lshlrev_b32_e32 v5, 4, v5
	ds_write_b128 v1, v[15:18]
	ds_write_b128 v1, v[23:26] offset:160
	ds_write_b128 v1, v[34:37] offset:320
	;; [unrolled: 1-line block ×4, first 2 shown]
	ds_write_b128 v2, v[19:22]
	ds_write_b128 v2, v[50:53] offset:160
	ds_write_b128 v2, v[42:45] offset:320
	;; [unrolled: 1-line block ×4, first 2 shown]
	s_waitcnt lgkmcnt(0)
	s_barrier
	buffer_gl0_inv
	s_clause 0x8
	global_load_dwordx4 v[1:4], v5, s[12:13] offset:656
	global_load_dwordx4 v[15:18], v5, s[12:13] offset:688
	;; [unrolled: 1-line block ×9, first 2 shown]
	ds_read_b128 v[50:53], v27 offset:8000
	ds_read_b128 v[54:57], v27 offset:16000
	;; [unrolled: 1-line block ×8, first 2 shown]
	v_lshlrev_b32_sdwa v7, v7, v29 dst_sel:DWORD dst_unused:UNUSED_PAD src0_sel:DWORD src1_sel:BYTE_0
	s_waitcnt vmcnt(8) lgkmcnt(7)
	v_mul_f64 v[5:6], v[52:53], v[3:4]
	s_waitcnt vmcnt(7) lgkmcnt(6)
	v_mul_f64 v[82:83], v[56:57], v[17:18]
	v_mul_f64 v[17:18], v[54:55], v[17:18]
	s_waitcnt vmcnt(6) lgkmcnt(5)
	v_mul_f64 v[84:85], v[60:61], v[21:22]
	v_mul_f64 v[21:22], v[58:59], v[21:22]
	;; [unrolled: 1-line block ×3, first 2 shown]
	s_waitcnt vmcnt(5) lgkmcnt(3)
	v_mul_f64 v[86:87], v[68:69], v[25:26]
	v_fma_f64 v[88:89], v[50:51], v[1:2], -v[5:6]
	v_mul_f64 v[5:6], v[66:67], v[25:26]
	v_fma_f64 v[82:83], v[54:55], v[15:16], -v[82:83]
	v_fma_f64 v[90:91], v[56:57], v[15:16], v[17:18]
	ds_read_b128 v[54:57], v27
	s_waitcnt vmcnt(4)
	v_mul_f64 v[15:16], v[64:65], v[32:33]
	s_waitcnt vmcnt(3) lgkmcnt(1)
	v_mul_f64 v[25:26], v[80:81], v[36:37]
	v_fma_f64 v[17:18], v[58:59], v[19:20], -v[84:85]
	v_fma_f64 v[19:20], v[60:61], v[19:20], v[21:22]
	s_waitcnt vmcnt(2)
	v_mul_f64 v[21:22], v[72:73], v[40:41]
	v_mul_f64 v[40:41], v[70:71], v[40:41]
	s_waitcnt vmcnt(1)
	v_mul_f64 v[58:59], v[74:75], v[44:45]
	v_mul_f64 v[44:45], v[76:77], v[44:45]
	;; [unrolled: 1-line block ×4, first 2 shown]
	v_fma_f64 v[1:2], v[52:53], v[1:2], v[3:4]
	ds_read_b128 v[50:53], v28
	v_fma_f64 v[3:4], v[66:67], v[23:24], -v[86:87]
	s_waitcnt vmcnt(0) lgkmcnt(0)
	s_barrier
	buffer_gl0_inv
	v_fma_f64 v[5:6], v[68:69], v[23:24], v[5:6]
	v_fma_f64 v[62:63], v[62:63], v[30:31], -v[15:16]
	v_fma_f64 v[15:16], v[78:79], v[34:35], -v[25:26]
	;; [unrolled: 1-line block ×3, first 2 shown]
	v_fma_f64 v[38:39], v[72:73], v[38:39], v[40:41]
	v_fma_f64 v[21:22], v[76:77], v[42:43], v[58:59]
	v_fma_f64 v[23:24], v[74:75], v[42:43], -v[44:45]
	v_fma_f64 v[30:31], v[64:65], v[30:31], v[32:33]
	v_mul_f64 v[60:61], v[52:53], v[48:49]
	v_mul_f64 v[48:49], v[50:51], v[48:49]
	v_fma_f64 v[25:26], v[80:81], v[34:35], v[36:37]
	v_add_f64 v[34:35], v[82:83], v[17:18]
	v_add_f64 v[40:41], v[88:89], v[3:4]
	;; [unrolled: 1-line block ×3, first 2 shown]
	v_add_f64 v[58:59], v[3:4], -v[17:18]
	v_add_f64 v[68:69], v[56:57], v[1:2]
	v_add_f64 v[70:71], v[82:83], -v[88:89]
	v_add_f64 v[44:45], v[1:2], v[5:6]
	v_add_f64 v[72:73], v[17:18], -v[3:4]
	v_add_f64 v[94:95], v[90:91], -v[1:2]
	v_add_f64 v[36:37], v[62:63], v[15:16]
	v_add_f64 v[74:75], v[62:63], -v[66:67]
	v_add_f64 v[78:79], v[66:67], -v[62:63]
	;; [unrolled: 1-line block ×5, first 2 shown]
	v_fma_f64 v[32:33], v[50:51], v[46:47], -v[60:61]
	v_fma_f64 v[46:47], v[52:53], v[46:47], v[48:49]
	v_add_f64 v[50:51], v[38:39], v[21:22]
	v_add_f64 v[52:53], v[66:67], v[23:24]
	;; [unrolled: 1-line block ×3, first 2 shown]
	v_add_f64 v[48:49], v[88:89], -v[82:83]
	v_add_f64 v[60:61], v[54:55], v[88:89]
	v_fma_f64 v[34:35], v[34:35], -0.5, v[54:55]
	v_fma_f64 v[40:41], v[40:41], -0.5, v[54:55]
	;; [unrolled: 1-line block ×4, first 2 shown]
	v_add_f64 v[54:55], v[30:31], -v[25:26]
	v_add_f64 v[56:57], v[62:63], -v[15:16]
	;; [unrolled: 1-line block ×4, first 2 shown]
	v_add_f64 v[70:71], v[70:71], v[72:73]
	v_add_f64 v[88:89], v[88:89], -v[3:4]
	v_add_f64 v[68:69], v[68:69], v[90:91]
	v_add_f64 v[74:75], v[74:75], v[76:77]
	;; [unrolled: 1-line block ×3, first 2 shown]
	v_fma_f64 v[36:37], v[36:37], -0.5, v[32:33]
	v_fma_f64 v[50:51], v[50:51], -0.5, v[46:47]
	;; [unrolled: 1-line block ×3, first 2 shown]
	v_add_f64 v[32:33], v[32:33], v[62:63]
	v_add_f64 v[62:63], v[66:67], -v[23:24]
	v_fma_f64 v[64:65], v[64:65], -0.5, v[46:47]
	v_add_f64 v[46:47], v[46:47], v[30:31]
	v_add_f64 v[30:31], v[38:39], -v[30:31]
	v_add_f64 v[48:49], v[48:49], v[58:59]
	v_add_f64 v[58:59], v[21:22], -v[25:26]
	;; [unrolled: 2-line block ×3, first 2 shown]
	v_add_f64 v[84:85], v[84:85], v[86:87]
	v_fma_f64 v[72:73], v[92:93], s[6:7], v[36:37]
	v_fma_f64 v[36:37], v[92:93], s[4:5], v[36:37]
	;; [unrolled: 1-line block ×8, first 2 shown]
	v_add_f64 v[32:33], v[32:33], v[66:67]
	v_add_f64 v[38:39], v[46:47], v[38:39]
	;; [unrolled: 1-line block ×3, first 2 shown]
	v_add_f64 v[58:59], v[1:2], -v[5:6]
	v_add_f64 v[17:18], v[60:61], v[17:18]
	v_fma_f64 v[72:73], v[54:55], s[8:9], v[72:73]
	v_fma_f64 v[36:37], v[54:55], s[16:17], v[36:37]
	v_add_f64 v[54:55], v[90:91], -v[19:20]
	v_fma_f64 v[78:79], v[62:63], s[16:17], v[78:79]
	v_fma_f64 v[80:81], v[92:93], s[8:9], v[80:81]
	;; [unrolled: 1-line block ×6, first 2 shown]
	v_add_f64 v[92:93], v[1:2], -v[90:91]
	v_add_f64 v[64:65], v[5:6], -v[19:20]
	v_fma_f64 v[46:47], v[58:59], s[4:5], v[34:35]
	v_fma_f64 v[34:35], v[58:59], s[6:7], v[34:35]
	;; [unrolled: 1-line block ×3, first 2 shown]
	v_add_f64 v[62:63], v[19:20], -v[5:6]
	v_fma_f64 v[42:43], v[88:89], s[4:5], v[42:43]
	v_add_f64 v[19:20], v[68:69], v[19:20]
	v_add_f64 v[23:24], v[32:33], v[23:24]
	;; [unrolled: 1-line block ×4, first 2 shown]
	v_lshlrev_b32_e32 v1, 2, v10
	v_mov_b32_e32 v2, 0
	v_fma_f64 v[72:73], v[76:77], s[14:15], v[72:73]
	v_fma_f64 v[36:37], v[76:77], s[14:15], v[36:37]
	;; [unrolled: 1-line block ×12, first 2 shown]
	v_add_f64 v[56:57], v[92:93], v[64:65]
	v_fma_f64 v[32:33], v[54:55], s[8:9], v[46:47]
	v_fma_f64 v[34:35], v[54:55], s[16:17], v[34:35]
	v_fma_f64 v[46:47], v[82:83], s[16:17], v[90:91]
	v_add_f64 v[62:63], v[94:95], v[62:63]
	v_fma_f64 v[42:43], v[82:83], s[8:9], v[42:43]
	v_add_f64 v[19:20], v[19:20], v[5:6]
	v_add_f64 v[15:16], v[23:24], v[15:16]
	;; [unrolled: 1-line block ×3, first 2 shown]
	v_mul_f64 v[68:69], v[36:37], s[14:15]
	v_fma_f64 v[38:39], v[58:59], s[8:9], v[66:67]
	v_mul_f64 v[54:55], v[78:79], s[8:9]
	v_mul_f64 v[60:61], v[80:81], s[16:17]
	v_fma_f64 v[40:41], v[58:59], s[16:17], v[40:41]
	v_fma_f64 v[58:59], v[88:89], s[16:17], v[76:77]
	v_mul_f64 v[64:65], v[86:87], s[4:5]
	v_mul_f64 v[66:67], v[72:73], s[6:7]
	v_fma_f64 v[44:45], v[88:89], s[8:9], v[44:45]
	v_mul_f64 v[74:75], v[30:31], s[14:15]
	v_mul_f64 v[76:77], v[52:53], s[0:1]
	;; [unrolled: 1-line block ×3, first 2 shown]
	v_fma_f64 v[23:24], v[48:49], s[14:15], v[32:33]
	v_fma_f64 v[84:85], v[48:49], s[14:15], v[34:35]
	v_fma_f64 v[25:26], v[56:57], s[14:15], v[46:47]
	v_mov_b32_e32 v88, 0x1f40
	v_fma_f64 v[56:57], v[56:57], s[14:15], v[42:43]
	v_add_f64 v[3:4], v[17:18], v[15:16]
	v_add_f64 v[5:6], v[19:20], v[21:22]
	v_add_f64 v[15:16], v[17:18], -v[15:16]
	v_add_f64 v[17:18], v[19:20], -v[21:22]
	v_mul_u32_u24_sdwa v0, v0, v88 dst_sel:DWORD dst_unused:UNUSED_PAD src0_sel:WORD_0 src1_sel:DWORD
	v_fma_f64 v[33:34], v[70:71], s[14:15], v[38:39]
	v_fma_f64 v[38:39], v[80:81], s[0:1], v[54:55]
	v_fma_f64 v[46:47], v[78:79], s[0:1], v[60:61]
	v_fma_f64 v[48:49], v[70:71], s[14:15], v[40:41]
	v_fma_f64 v[40:41], v[62:63], s[14:15], v[58:59]
	v_fma_f64 v[54:55], v[72:73], s[14:15], v[64:65]
	v_fma_f64 v[58:59], v[86:87], s[14:15], v[66:67]
	v_fma_f64 v[60:61], v[62:63], s[14:15], v[44:45]
	v_fma_f64 v[62:63], v[30:31], s[4:5], -v[68:69]
	v_fma_f64 v[64:65], v[36:37], s[6:7], -v[74:75]
	;; [unrolled: 1-line block ×4, first 2 shown]
	v_lshlrev_b64 v[66:67], 4, v[1:2]
	v_add3_u32 v0, 0, v0, v7
	v_lshlrev_b32_e32 v1, 2, v14
	s_add_u32 s1, s12, 0x9ba0
	v_add_f64 v[19:20], v[23:24], v[38:39]
	v_add_f64 v[21:22], v[25:26], v[46:47]
	v_add_f64 v[23:24], v[23:24], -v[38:39]
	v_add_f64 v[25:26], v[25:26], -v[46:47]
	v_add_f64 v[29:30], v[33:34], v[54:55]
	v_add_f64 v[31:32], v[40:41], v[58:59]
	v_add_f64 v[35:36], v[40:41], -v[58:59]
	v_add_f64 v[37:38], v[48:49], v[62:63]
	v_add_f64 v[39:40], v[60:61], v[64:65]
	;; [unrolled: 1-line block ×4, first 2 shown]
	v_add_f64 v[33:34], v[33:34], -v[54:55]
	v_add_f64 v[45:46], v[48:49], -v[62:63]
	;; [unrolled: 1-line block ×5, first 2 shown]
	v_add_co_u32 v55, s0, s12, v66
	v_add_co_ci_u32_e64 v56, s0, s13, v67, s0
	ds_write_b128 v0, v[3:6]
	ds_write_b128 v0, v[15:18] offset:4000
	ds_write_b128 v0, v[19:22] offset:800
	;; [unrolled: 1-line block ×9, first 2 shown]
	v_add_co_u32 v53, s0, 0x1800, v55
	v_add_co_ci_u32_e64 v54, s0, 0, v56, s0
	v_add_co_u32 v23, s0, 0x1ea0, v55
	v_add_co_ci_u32_e64 v24, s0, 0, v56, s0
	s_waitcnt lgkmcnt(0)
	s_barrier
	buffer_gl0_inv
	s_clause 0x2
	global_load_dwordx4 v[3:6], v[53:54], off offset:1696
	global_load_dwordx4 v[15:18], v[23:24], off offset:16
	;; [unrolled: 1-line block ×3, first 2 shown]
	v_lshlrev_b64 v[0:1], 4, v[1:2]
	global_load_dwordx4 v[23:26], v[23:24], off offset:48
	v_add_co_u32 v7, s0, s12, v0
	v_add_co_ci_u32_e64 v29, s0, s13, v1, s0
	v_add_co_u32 v0, s0, 0x1800, v7
	v_add_co_ci_u32_e64 v1, s0, 0, v29, s0
	;; [unrolled: 2-line block ×3, first 2 shown]
	s_clause 0x3
	global_load_dwordx4 v[29:32], v[0:1], off offset:1696
	global_load_dwordx4 v[33:36], v[41:42], off offset:16
	;; [unrolled: 1-line block ×4, first 2 shown]
	ds_read_b128 v[45:48], v27 offset:8000
	ds_read_b128 v[49:52], v27 offset:16000
	;; [unrolled: 1-line block ×8, first 2 shown]
	ds_read_b128 v[77:80], v28
	s_waitcnt vmcnt(7) lgkmcnt(8)
	v_mul_f64 v[0:1], v[47:48], v[5:6]
	v_mul_f64 v[5:6], v[45:46], v[5:6]
	s_waitcnt vmcnt(6) lgkmcnt(7)
	v_mul_f64 v[81:82], v[51:52], v[17:18]
	v_mul_f64 v[17:18], v[49:50], v[17:18]
	;; [unrolled: 3-line block ×4, first 2 shown]
	v_fma_f64 v[0:1], v[45:46], v[3:4], -v[0:1]
	v_fma_f64 v[45:46], v[47:48], v[3:4], v[5:6]
	ds_read_b128 v[3:6], v27
	s_waitcnt vmcnt(3) lgkmcnt(5)
	v_mul_f64 v[47:48], v[63:64], v[31:32]
	v_mul_f64 v[31:32], v[61:62], v[31:32]
	s_waitcnt vmcnt(2) lgkmcnt(4)
	v_mul_f64 v[87:88], v[67:68], v[35:36]
	v_fma_f64 v[49:50], v[49:50], v[15:16], -v[81:82]
	v_fma_f64 v[15:16], v[51:52], v[15:16], v[17:18]
	v_mul_f64 v[17:18], v[65:66], v[35:36]
	s_waitcnt vmcnt(1) lgkmcnt(3)
	v_mul_f64 v[35:36], v[71:72], v[39:40]
	v_mul_f64 v[39:40], v[69:70], v[39:40]
	s_waitcnt vmcnt(0) lgkmcnt(2)
	v_mul_f64 v[51:52], v[75:76], v[43:44]
	v_fma_f64 v[53:54], v[53:54], v[19:20], -v[83:84]
	v_fma_f64 v[19:20], v[55:56], v[19:20], v[21:22]
	v_mul_f64 v[21:22], v[73:74], v[43:44]
	v_fma_f64 v[43:44], v[57:58], v[23:24], -v[85:86]
	v_fma_f64 v[23:24], v[59:60], v[23:24], v[25:26]
	s_waitcnt lgkmcnt(0)
	s_barrier
	buffer_gl0_inv
	v_add_f64 v[55:56], v[5:6], v[45:46]
	v_fma_f64 v[25:26], v[61:62], v[29:30], -v[47:48]
	v_fma_f64 v[29:30], v[63:64], v[29:30], v[31:32]
	v_fma_f64 v[31:32], v[65:66], v[33:34], -v[87:88]
	v_add_f64 v[65:66], v[3:4], v[0:1]
	v_add_f64 v[83:84], v[15:16], -v[45:46]
	v_fma_f64 v[17:18], v[67:68], v[33:34], v[17:18]
	v_fma_f64 v[33:34], v[69:70], v[37:38], -v[35:36]
	v_fma_f64 v[37:38], v[71:72], v[37:38], v[39:40]
	v_fma_f64 v[35:36], v[73:74], v[41:42], -v[51:52]
	v_add_f64 v[39:40], v[49:50], v[53:54]
	v_add_f64 v[47:48], v[15:16], v[19:20]
	v_fma_f64 v[21:22], v[75:76], v[41:42], v[21:22]
	v_add_f64 v[41:42], v[0:1], v[43:44]
	v_add_f64 v[51:52], v[45:46], v[23:24]
	v_add_f64 v[67:68], v[0:1], -v[49:50]
	v_add_f64 v[69:70], v[43:44], -v[53:54]
	;; [unrolled: 1-line block ×7, first 2 shown]
	v_add_f64 v[55:56], v[55:56], v[15:16]
	v_add_f64 v[89:90], v[77:78], v[25:26]
	;; [unrolled: 1-line block ×3, first 2 shown]
	v_add_f64 v[45:46], v[45:46], -v[23:24]
	v_add_f64 v[65:66], v[65:66], v[49:50]
	v_add_f64 v[0:1], v[0:1], -v[43:44]
	v_add_f64 v[15:16], v[15:16], -v[19:20]
	v_add_f64 v[57:58], v[31:32], v[33:34]
	v_add_f64 v[61:62], v[17:18], v[37:38]
	;; [unrolled: 1-line block ×3, first 2 shown]
	v_fma_f64 v[39:40], v[39:40], -0.5, v[3:4]
	v_add_f64 v[49:50], v[49:50], -v[53:54]
	v_add_f64 v[63:64], v[29:30], v[21:22]
	v_fma_f64 v[3:4], v[41:42], -0.5, v[3:4]
	v_fma_f64 v[41:42], v[47:48], -0.5, v[5:6]
	;; [unrolled: 1-line block ×3, first 2 shown]
	v_add_f64 v[51:52], v[31:32], -v[25:26]
	v_add_f64 v[67:68], v[67:68], v[69:70]
	v_add_f64 v[69:70], v[21:22], -v[37:38]
	v_add_f64 v[91:92], v[25:26], -v[31:32]
	v_add_f64 v[71:72], v[71:72], v[73:74]
	v_add_f64 v[73:74], v[17:18], -v[29:30]
	v_add_f64 v[75:76], v[75:76], v[81:82]
	;; [unrolled: 2-line block ×3, first 2 shown]
	v_add_f64 v[25:26], v[25:26], -v[35:36]
	v_add_f64 v[47:48], v[35:36], -v[33:34]
	v_add_f64 v[83:84], v[83:84], v[85:86]
	v_add_f64 v[85:86], v[31:32], -v[33:34]
	v_fma_f64 v[57:58], v[57:58], -0.5, v[77:78]
	v_fma_f64 v[61:62], v[61:62], -0.5, v[79:80]
	v_fma_f64 v[59:60], v[59:60], -0.5, v[77:78]
	v_add_f64 v[77:78], v[33:34], -v[35:36]
	v_add_f64 v[31:32], v[89:90], v[31:32]
	v_fma_f64 v[63:64], v[63:64], -0.5, v[79:80]
	v_add_f64 v[79:80], v[29:30], -v[17:18]
	v_add_f64 v[29:30], v[29:30], -v[21:22]
	;; [unrolled: 1-line block ×3, first 2 shown]
	v_add_f64 v[19:20], v[55:56], v[19:20]
	v_add_f64 v[53:54], v[65:66], v[53:54]
	v_fma_f64 v[55:56], v[45:46], s[4:5], v[39:40]
	v_fma_f64 v[65:66], v[0:1], s[6:7], v[41:42]
	;; [unrolled: 1-line block ×4, first 2 shown]
	v_add_f64 v[73:74], v[73:74], v[81:82]
	v_add_f64 v[37:38], v[87:88], v[37:38]
	;; [unrolled: 1-line block ×3, first 2 shown]
	v_fma_f64 v[87:88], v[25:26], s[6:7], v[61:62]
	v_fma_f64 v[61:62], v[25:26], s[4:5], v[61:62]
	v_add_f64 v[51:52], v[51:52], v[77:78]
	v_fma_f64 v[77:78], v[15:16], s[6:7], v[3:4]
	v_fma_f64 v[3:4], v[15:16], s[4:5], v[3:4]
	v_add_f64 v[69:70], v[79:80], v[69:70]
	v_fma_f64 v[79:80], v[49:50], s[4:5], v[5:6]
	v_fma_f64 v[5:6], v[49:50], s[6:7], v[5:6]
	;; [unrolled: 1-line block ×8, first 2 shown]
	v_add_f64 v[31:32], v[31:32], v[33:34]
	v_fma_f64 v[33:34], v[15:16], s[8:9], v[55:56]
	v_fma_f64 v[55:56], v[49:50], s[16:17], v[65:66]
	;; [unrolled: 1-line block ×4, first 2 shown]
	s_addc_u32 s4, s13, 0
	s_mov_b32 s5, exec_lo
	v_fma_f64 v[61:62], v[85:86], s[8:9], v[61:62]
	v_fma_f64 v[49:50], v[45:46], s[8:9], v[77:78]
	;; [unrolled: 1-line block ×3, first 2 shown]
	v_add_f64 v[3:4], v[53:54], v[43:44]
	v_fma_f64 v[65:66], v[0:1], s[16:17], v[79:80]
	v_fma_f64 v[0:1], v[0:1], s[8:9], v[5:6]
	v_fma_f64 v[77:78], v[17:18], s[8:9], v[81:82]
	v_fma_f64 v[79:80], v[85:86], s[16:17], v[87:88]
	v_fma_f64 v[57:58], v[17:18], s[16:17], v[57:58]
	v_fma_f64 v[81:82], v[29:30], s[8:9], v[89:90]
	v_fma_f64 v[87:88], v[25:26], s[16:17], v[91:92]
	v_fma_f64 v[59:60], v[29:30], s[16:17], v[59:60]
	v_fma_f64 v[63:64], v[25:26], s[8:9], v[63:64]
	v_add_f64 v[5:6], v[19:20], v[23:24]
	v_add_f64 v[17:18], v[37:38], v[21:22]
	v_fma_f64 v[19:20], v[67:68], s[14:15], v[33:34]
	v_fma_f64 v[21:22], v[75:76], s[14:15], v[55:56]
	v_add_f64 v[15:16], v[31:32], v[35:36]
	v_fma_f64 v[23:24], v[67:68], s[14:15], v[39:40]
	v_fma_f64 v[25:26], v[75:76], s[14:15], v[41:42]
	;; [unrolled: 1-line block ×14, first 2 shown]
	ds_write_b128 v27, v[3:6]
	ds_write_b128 v27, v[19:22] offset:8000
	ds_write_b128 v27, v[29:32] offset:16000
	;; [unrolled: 1-line block ×4, first 2 shown]
	ds_write_b128 v28, v[15:18]
	ds_write_b128 v28, v[37:40] offset:8000
	ds_write_b128 v28, v[45:48] offset:16000
	;; [unrolled: 1-line block ×4, first 2 shown]
	s_waitcnt lgkmcnt(0)
	s_barrier
	buffer_gl0_inv
	ds_read_b128 v[4:7], v27
	v_sub_nc_u32_e32 v20, 0, v11
                                        ; implicit-def: $vgpr0_vgpr1
                                        ; implicit-def: $vgpr16_vgpr17
                                        ; implicit-def: $vgpr18_vgpr19
	v_cmpx_ne_u32_e32 0, v10
	s_xor_b32 s5, exec_lo, s5
	s_cbranch_execz .LBB0_15
; %bb.14:
	v_mov_b32_e32 v11, v2
	v_lshlrev_b64 v[0:1], 4, v[10:11]
	v_add_co_u32 v0, s0, s1, v0
	v_add_co_ci_u32_e64 v1, s0, s4, v1, s0
	global_load_dwordx4 v[21:24], v[0:1], off
	ds_read_b128 v[0:3], v20 offset:40000
	s_waitcnt lgkmcnt(0)
	v_add_f64 v[15:16], v[4:5], -v[0:1]
	v_add_f64 v[17:18], v[6:7], v[2:3]
	v_add_f64 v[2:3], v[6:7], -v[2:3]
	v_add_f64 v[0:1], v[4:5], v[0:1]
	v_mul_f64 v[6:7], v[15:16], 0.5
	v_mul_f64 v[4:5], v[17:18], 0.5
	;; [unrolled: 1-line block ×3, first 2 shown]
	s_waitcnt vmcnt(0)
	v_mul_f64 v[15:16], v[6:7], v[23:24]
	v_fma_f64 v[17:18], v[4:5], v[23:24], v[2:3]
	v_fma_f64 v[2:3], v[4:5], v[23:24], -v[2:3]
	v_fma_f64 v[25:26], v[0:1], 0.5, v[15:16]
	v_fma_f64 v[0:1], v[0:1], 0.5, -v[15:16]
	v_fma_f64 v[18:19], -v[21:22], v[6:7], v[17:18]
	v_fma_f64 v[2:3], -v[21:22], v[6:7], v[2:3]
	v_fma_f64 v[16:17], v[4:5], v[21:22], v[25:26]
	v_fma_f64 v[0:1], -v[4:5], v[21:22], v[0:1]
                                        ; implicit-def: $vgpr4_vgpr5
.LBB0_15:
	s_andn2_saveexec_b32 s0, s5
	s_cbranch_execz .LBB0_17
; %bb.16:
	v_mov_b32_e32 v11, 0
	s_waitcnt lgkmcnt(0)
	v_add_f64 v[16:17], v[4:5], v[6:7]
	v_add_f64 v[0:1], v[4:5], -v[6:7]
	v_mov_b32_e32 v18, 0
	v_mov_b32_e32 v19, 0
	ds_read_b64 v[21:22], v11 offset:20008
	v_mov_b32_e32 v2, v18
	v_mov_b32_e32 v3, v19
	s_waitcnt lgkmcnt(0)
	v_xor_b32_e32 v22, 0x80000000, v22
	ds_write_b64 v11, v[21:22] offset:20008
.LBB0_17:
	s_or_b32 exec_lo, exec_lo, s0
	v_mov_b32_e32 v15, 0
	ds_write2_b64 v27, v[16:17], v[18:19] offset1:1
	ds_write_b128 v20, v[0:3] offset:40000
	v_add_nc_u32_e32 v11, 0x1800, v27
	s_waitcnt lgkmcnt(2)
	v_lshlrev_b64 v[4:5], 4, v[14:15]
	v_add_nc_u32_e32 v14, 0x1f4, v10
	v_lshlrev_b64 v[21:22], 4, v[14:15]
	v_add_co_u32 v4, s0, s1, v4
	v_add_co_ci_u32_e64 v5, s0, s4, v5, s0
	v_add_nc_u32_e32 v14, 0x2ee, v10
	v_add_co_u32 v21, s0, s1, v21
	global_load_dwordx4 v[4:7], v[4:5], off
	v_add_co_ci_u32_e64 v22, s0, s4, v22, s0
	v_lshlrev_b64 v[25:26], 4, v[14:15]
	v_add_nc_u32_e32 v14, 0x3e8, v10
	global_load_dwordx4 v[21:24], v[21:22], off
	ds_read_b128 v[0:3], v28
	ds_read_b128 v[16:19], v20 offset:36000
	v_add_co_u32 v25, s0, s1, v25
	v_add_co_ci_u32_e64 v26, s0, s4, v26, s0
	global_load_dwordx4 v[29:32], v[25:26], off
	s_waitcnt lgkmcnt(0)
	v_add_f64 v[25:26], v[0:1], -v[16:17]
	v_add_f64 v[33:34], v[2:3], v[18:19]
	v_add_f64 v[2:3], v[2:3], -v[18:19]
	v_add_f64 v[0:1], v[0:1], v[16:17]
	v_mul_f64 v[18:19], v[25:26], 0.5
	v_mul_f64 v[25:26], v[33:34], 0.5
	;; [unrolled: 1-line block ×3, first 2 shown]
	s_waitcnt vmcnt(2)
	v_mul_f64 v[16:17], v[18:19], v[6:7]
	v_fma_f64 v[33:34], v[25:26], v[6:7], v[2:3]
	v_fma_f64 v[2:3], v[25:26], v[6:7], -v[2:3]
	v_fma_f64 v[6:7], v[0:1], 0.5, v[16:17]
	v_fma_f64 v[0:1], v[0:1], 0.5, -v[16:17]
	v_fma_f64 v[16:17], -v[4:5], v[18:19], v[33:34]
	v_fma_f64 v[2:3], -v[4:5], v[18:19], v[2:3]
	v_lshlrev_b64 v[18:19], 4, v[14:15]
	v_fma_f64 v[6:7], v[25:26], v[4:5], v[6:7]
	v_fma_f64 v[0:1], -v[25:26], v[4:5], v[0:1]
	ds_write2_b64 v28, v[6:7], v[16:17] offset1:1
	ds_write_b128 v20, v[0:3] offset:36000
	v_add_co_u32 v16, s0, s1, v18
	ds_read_b128 v[0:3], v27 offset:8000
	ds_read_b128 v[4:7], v20 offset:32000
	v_add_co_ci_u32_e64 v17, s0, s4, v19, s0
	global_load_dwordx4 v[16:19], v[16:17], off
	s_waitcnt lgkmcnt(0)
	v_add_f64 v[25:26], v[0:1], -v[4:5]
	v_add_f64 v[33:34], v[2:3], v[6:7]
	v_add_f64 v[2:3], v[2:3], -v[6:7]
	v_add_f64 v[0:1], v[0:1], v[4:5]
	v_mul_f64 v[6:7], v[25:26], 0.5
	v_mul_f64 v[25:26], v[33:34], 0.5
	;; [unrolled: 1-line block ×3, first 2 shown]
	s_waitcnt vmcnt(2)
	v_mul_f64 v[4:5], v[6:7], v[23:24]
	v_fma_f64 v[33:34], v[25:26], v[23:24], v[2:3]
	v_fma_f64 v[2:3], v[25:26], v[23:24], -v[2:3]
	v_fma_f64 v[23:24], v[0:1], 0.5, v[4:5]
	v_fma_f64 v[0:1], v[0:1], 0.5, -v[4:5]
	v_fma_f64 v[4:5], -v[21:22], v[6:7], v[33:34]
	v_fma_f64 v[2:3], -v[21:22], v[6:7], v[2:3]
	v_fma_f64 v[6:7], v[25:26], v[21:22], v[23:24]
	v_fma_f64 v[0:1], -v[25:26], v[21:22], v[0:1]
	ds_write2_b64 v11, v[6:7], v[4:5] offset0:232 offset1:233
	ds_write_b128 v20, v[0:3] offset:32000
	ds_read_b128 v[0:3], v27 offset:12000
	ds_read_b128 v[4:7], v20 offset:28000
	v_add_nc_u32_e32 v11, 0x2800, v27
	s_waitcnt lgkmcnt(0)
	v_add_f64 v[21:22], v[0:1], -v[4:5]
	v_add_f64 v[23:24], v[2:3], v[6:7]
	v_add_f64 v[2:3], v[2:3], -v[6:7]
	v_add_f64 v[0:1], v[0:1], v[4:5]
	v_mul_f64 v[6:7], v[21:22], 0.5
	v_mul_f64 v[21:22], v[23:24], 0.5
	;; [unrolled: 1-line block ×3, first 2 shown]
	s_waitcnt vmcnt(1)
	v_mul_f64 v[4:5], v[6:7], v[31:32]
	v_fma_f64 v[23:24], v[21:22], v[31:32], v[2:3]
	v_fma_f64 v[2:3], v[21:22], v[31:32], -v[2:3]
	v_fma_f64 v[25:26], v[0:1], 0.5, v[4:5]
	v_fma_f64 v[0:1], v[0:1], 0.5, -v[4:5]
	v_fma_f64 v[4:5], -v[29:30], v[6:7], v[23:24]
	v_fma_f64 v[2:3], -v[29:30], v[6:7], v[2:3]
	v_fma_f64 v[6:7], v[21:22], v[29:30], v[25:26]
	v_fma_f64 v[0:1], -v[21:22], v[29:30], v[0:1]
	ds_write2_b64 v11, v[6:7], v[4:5] offset0:220 offset1:221
	ds_write_b128 v20, v[0:3] offset:28000
	ds_read_b128 v[0:3], v27 offset:16000
	ds_read_b128 v[4:7], v20 offset:24000
	v_add_nc_u32_e32 v11, 0x3800, v27
	s_waitcnt lgkmcnt(0)
	v_add_f64 v[21:22], v[0:1], -v[4:5]
	v_add_f64 v[23:24], v[2:3], v[6:7]
	v_add_f64 v[2:3], v[2:3], -v[6:7]
	v_add_f64 v[0:1], v[0:1], v[4:5]
	v_mul_f64 v[6:7], v[21:22], 0.5
	v_mul_f64 v[21:22], v[23:24], 0.5
	;; [unrolled: 1-line block ×3, first 2 shown]
	s_waitcnt vmcnt(0)
	v_mul_f64 v[4:5], v[6:7], v[18:19]
	v_fma_f64 v[23:24], v[21:22], v[18:19], v[2:3]
	v_fma_f64 v[2:3], v[21:22], v[18:19], -v[2:3]
	v_fma_f64 v[18:19], v[0:1], 0.5, v[4:5]
	v_fma_f64 v[0:1], v[0:1], 0.5, -v[4:5]
	v_fma_f64 v[4:5], -v[16:17], v[6:7], v[23:24]
	v_fma_f64 v[2:3], -v[16:17], v[6:7], v[2:3]
	v_fma_f64 v[6:7], v[21:22], v[16:17], v[18:19]
	v_fma_f64 v[0:1], -v[21:22], v[16:17], v[0:1]
	ds_write2_b64 v11, v[6:7], v[4:5] offset0:208 offset1:209
	ds_write_b128 v20, v[0:3] offset:24000
	s_waitcnt lgkmcnt(0)
	s_barrier
	buffer_gl0_inv
	s_and_saveexec_b32 s0, vcc_lo
	s_cbranch_execz .LBB0_20
; %bb.18:
	v_mul_lo_u32 v2, s3, v12
	v_mul_lo_u32 v3, s2, v13
	v_mad_u64_u32 v[0:1], null, s2, v12, 0
	v_lshl_add_u32 v30, v10, 4, 0
	v_mov_b32_e32 v11, v15
	v_lshlrev_b64 v[12:13], 4, v[8:9]
	v_add_nc_u32_e32 v14, 0xfa, v10
	v_add3_u32 v1, v1, v3, v2
	ds_read_b128 v[2:5], v30
	ds_read_b128 v[6:9], v30 offset:4000
	ds_read_b128 v[16:19], v30 offset:8000
	v_lshlrev_b64 v[20:21], 4, v[10:11]
	v_lshlrev_b64 v[22:23], 4, v[14:15]
	;; [unrolled: 1-line block ×3, first 2 shown]
	v_add_nc_u32_e32 v14, 0x1f4, v10
	v_add_co_u32 v0, vcc_lo, s10, v0
	v_add_co_ci_u32_e32 v1, vcc_lo, s11, v1, vcc_lo
	v_add_co_u32 v0, vcc_lo, v0, v12
	v_add_co_ci_u32_e32 v1, vcc_lo, v1, v13, vcc_lo
	v_lshlrev_b64 v[11:12], 4, v[14:15]
	v_add_co_u32 v24, vcc_lo, v0, v20
	v_add_co_ci_u32_e32 v25, vcc_lo, v1, v21, vcc_lo
	v_add_co_u32 v26, vcc_lo, v0, v22
	v_add_co_ci_u32_e32 v27, vcc_lo, v1, v23, vcc_lo
	v_add_co_u32 v11, vcc_lo, v0, v11
	v_add_nc_u32_e32 v14, 0x2ee, v10
	v_add_co_ci_u32_e32 v12, vcc_lo, v1, v12, vcc_lo
	ds_read_b128 v[20:23], v30 offset:36000
	s_waitcnt lgkmcnt(3)
	global_store_dwordx4 v[24:25], v[2:5], off
	s_waitcnt lgkmcnt(2)
	global_store_dwordx4 v[26:27], v[6:9], off
	;; [unrolled: 2-line block ×3, first 2 shown]
	v_lshlrev_b64 v[24:25], 4, v[14:15]
	v_add_nc_u32_e32 v14, 0x3e8, v10
	ds_read_b128 v[2:5], v30 offset:12000
	ds_read_b128 v[6:9], v30 offset:16000
	;; [unrolled: 1-line block ×3, first 2 shown]
	v_lshlrev_b64 v[11:12], 4, v[14:15]
	v_add_nc_u32_e32 v14, 0x4e2, v10
	v_add_co_u32 v24, vcc_lo, v0, v24
	v_add_co_ci_u32_e32 v25, vcc_lo, v1, v25, vcc_lo
	v_lshlrev_b64 v[26:27], 4, v[14:15]
	v_add_nc_u32_e32 v14, 0x5dc, v10
	v_add_co_u32 v11, vcc_lo, v0, v11
	v_add_co_ci_u32_e32 v12, vcc_lo, v1, v12, vcc_lo
	;; [unrolled: 4-line block ×3, first 2 shown]
	s_waitcnt lgkmcnt(2)
	global_store_dwordx4 v[24:25], v[2:5], off
	s_waitcnt lgkmcnt(1)
	global_store_dwordx4 v[11:12], v[6:9], off
	v_lshlrev_b64 v[11:12], 4, v[14:15]
	v_add_nc_u32_e32 v14, 0x7d0, v10
	s_waitcnt lgkmcnt(0)
	global_store_dwordx4 v[26:27], v[16:19], off
	ds_read_b128 v[2:5], v30 offset:24000
	ds_read_b128 v[6:9], v30 offset:28000
	;; [unrolled: 1-line block ×3, first 2 shown]
	v_add_co_u32 v24, vcc_lo, v0, v28
	v_lshlrev_b64 v[26:27], 4, v[14:15]
	v_add_nc_u32_e32 v14, 0x8ca, v10
	v_add_co_ci_u32_e32 v25, vcc_lo, v1, v29, vcc_lo
	v_add_co_u32 v11, vcc_lo, v0, v11
	v_lshlrev_b64 v[13:14], 4, v[14:15]
	v_add_co_ci_u32_e32 v12, vcc_lo, v1, v12, vcc_lo
	v_add_co_u32 v26, vcc_lo, v0, v26
	v_add_co_ci_u32_e32 v27, vcc_lo, v1, v27, vcc_lo
	v_add_co_u32 v13, vcc_lo, v0, v13
	v_add_co_ci_u32_e32 v14, vcc_lo, v1, v14, vcc_lo
	v_cmp_eq_u32_e32 vcc_lo, 0xf9, v10
	s_waitcnt lgkmcnt(2)
	global_store_dwordx4 v[24:25], v[2:5], off
	s_waitcnt lgkmcnt(1)
	global_store_dwordx4 v[11:12], v[6:9], off
	;; [unrolled: 2-line block ×3, first 2 shown]
	global_store_dwordx4 v[13:14], v[20:23], off
	s_and_b32 exec_lo, exec_lo, vcc_lo
	s_cbranch_execz .LBB0_20
; %bb.19:
	v_mov_b32_e32 v2, 0
	v_add_co_u32 v0, vcc_lo, 0x9800, v0
	v_add_co_ci_u32_e32 v1, vcc_lo, 0, v1, vcc_lo
	ds_read_b128 v[2:5], v2 offset:40000
	s_waitcnt lgkmcnt(0)
	global_store_dwordx4 v[0:1], v[2:5], off offset:1088
.LBB0_20:
	s_endpgm
	.section	.rodata,"a",@progbits
	.p2align	6, 0x0
	.amdhsa_kernel fft_rtc_fwd_len2500_factors_10_5_10_5_wgs_250_tpt_250_halfLds_dp_op_CI_CI_unitstride_sbrr_R2C_dirReg
		.amdhsa_group_segment_fixed_size 0
		.amdhsa_private_segment_fixed_size 0
		.amdhsa_kernarg_size 104
		.amdhsa_user_sgpr_count 6
		.amdhsa_user_sgpr_private_segment_buffer 1
		.amdhsa_user_sgpr_dispatch_ptr 0
		.amdhsa_user_sgpr_queue_ptr 0
		.amdhsa_user_sgpr_kernarg_segment_ptr 1
		.amdhsa_user_sgpr_dispatch_id 0
		.amdhsa_user_sgpr_flat_scratch_init 0
		.amdhsa_user_sgpr_private_segment_size 0
		.amdhsa_wavefront_size32 1
		.amdhsa_uses_dynamic_stack 0
		.amdhsa_system_sgpr_private_segment_wavefront_offset 0
		.amdhsa_system_sgpr_workgroup_id_x 1
		.amdhsa_system_sgpr_workgroup_id_y 0
		.amdhsa_system_sgpr_workgroup_id_z 0
		.amdhsa_system_sgpr_workgroup_info 0
		.amdhsa_system_vgpr_workitem_id 0
		.amdhsa_next_free_vgpr 100
		.amdhsa_next_free_sgpr 27
		.amdhsa_reserve_vcc 1
		.amdhsa_reserve_flat_scratch 0
		.amdhsa_float_round_mode_32 0
		.amdhsa_float_round_mode_16_64 0
		.amdhsa_float_denorm_mode_32 3
		.amdhsa_float_denorm_mode_16_64 3
		.amdhsa_dx10_clamp 1
		.amdhsa_ieee_mode 1
		.amdhsa_fp16_overflow 0
		.amdhsa_workgroup_processor_mode 1
		.amdhsa_memory_ordered 1
		.amdhsa_forward_progress 0
		.amdhsa_shared_vgpr_count 0
		.amdhsa_exception_fp_ieee_invalid_op 0
		.amdhsa_exception_fp_denorm_src 0
		.amdhsa_exception_fp_ieee_div_zero 0
		.amdhsa_exception_fp_ieee_overflow 0
		.amdhsa_exception_fp_ieee_underflow 0
		.amdhsa_exception_fp_ieee_inexact 0
		.amdhsa_exception_int_div_zero 0
	.end_amdhsa_kernel
	.text
.Lfunc_end0:
	.size	fft_rtc_fwd_len2500_factors_10_5_10_5_wgs_250_tpt_250_halfLds_dp_op_CI_CI_unitstride_sbrr_R2C_dirReg, .Lfunc_end0-fft_rtc_fwd_len2500_factors_10_5_10_5_wgs_250_tpt_250_halfLds_dp_op_CI_CI_unitstride_sbrr_R2C_dirReg
                                        ; -- End function
	.section	.AMDGPU.csdata,"",@progbits
; Kernel info:
; codeLenInByte = 10100
; NumSgprs: 29
; NumVgprs: 100
; ScratchSize: 0
; MemoryBound: 0
; FloatMode: 240
; IeeeMode: 1
; LDSByteSize: 0 bytes/workgroup (compile time only)
; SGPRBlocks: 3
; VGPRBlocks: 12
; NumSGPRsForWavesPerEU: 29
; NumVGPRsForWavesPerEU: 100
; Occupancy: 9
; WaveLimiterHint : 1
; COMPUTE_PGM_RSRC2:SCRATCH_EN: 0
; COMPUTE_PGM_RSRC2:USER_SGPR: 6
; COMPUTE_PGM_RSRC2:TRAP_HANDLER: 0
; COMPUTE_PGM_RSRC2:TGID_X_EN: 1
; COMPUTE_PGM_RSRC2:TGID_Y_EN: 0
; COMPUTE_PGM_RSRC2:TGID_Z_EN: 0
; COMPUTE_PGM_RSRC2:TIDIG_COMP_CNT: 0
	.text
	.p2alignl 6, 3214868480
	.fill 48, 4, 3214868480
	.type	__hip_cuid_90aaca795e79aef,@object ; @__hip_cuid_90aaca795e79aef
	.section	.bss,"aw",@nobits
	.globl	__hip_cuid_90aaca795e79aef
__hip_cuid_90aaca795e79aef:
	.byte	0                               ; 0x0
	.size	__hip_cuid_90aaca795e79aef, 1

	.ident	"AMD clang version 19.0.0git (https://github.com/RadeonOpenCompute/llvm-project roc-6.4.0 25133 c7fe45cf4b819c5991fe208aaa96edf142730f1d)"
	.section	".note.GNU-stack","",@progbits
	.addrsig
	.addrsig_sym __hip_cuid_90aaca795e79aef
	.amdgpu_metadata
---
amdhsa.kernels:
  - .args:
      - .actual_access:  read_only
        .address_space:  global
        .offset:         0
        .size:           8
        .value_kind:     global_buffer
      - .offset:         8
        .size:           8
        .value_kind:     by_value
      - .actual_access:  read_only
        .address_space:  global
        .offset:         16
        .size:           8
        .value_kind:     global_buffer
      - .actual_access:  read_only
        .address_space:  global
        .offset:         24
        .size:           8
        .value_kind:     global_buffer
      - .actual_access:  read_only
        .address_space:  global
        .offset:         32
        .size:           8
        .value_kind:     global_buffer
      - .offset:         40
        .size:           8
        .value_kind:     by_value
      - .actual_access:  read_only
        .address_space:  global
        .offset:         48
        .size:           8
        .value_kind:     global_buffer
      - .actual_access:  read_only
        .address_space:  global
        .offset:         56
        .size:           8
        .value_kind:     global_buffer
      - .offset:         64
        .size:           4
        .value_kind:     by_value
      - .actual_access:  read_only
        .address_space:  global
        .offset:         72
        .size:           8
        .value_kind:     global_buffer
      - .actual_access:  read_only
        .address_space:  global
        .offset:         80
        .size:           8
        .value_kind:     global_buffer
      - .actual_access:  read_only
        .address_space:  global
        .offset:         88
        .size:           8
        .value_kind:     global_buffer
      - .actual_access:  write_only
        .address_space:  global
        .offset:         96
        .size:           8
        .value_kind:     global_buffer
    .group_segment_fixed_size: 0
    .kernarg_segment_align: 8
    .kernarg_segment_size: 104
    .language:       OpenCL C
    .language_version:
      - 2
      - 0
    .max_flat_workgroup_size: 250
    .name:           fft_rtc_fwd_len2500_factors_10_5_10_5_wgs_250_tpt_250_halfLds_dp_op_CI_CI_unitstride_sbrr_R2C_dirReg
    .private_segment_fixed_size: 0
    .sgpr_count:     29
    .sgpr_spill_count: 0
    .symbol:         fft_rtc_fwd_len2500_factors_10_5_10_5_wgs_250_tpt_250_halfLds_dp_op_CI_CI_unitstride_sbrr_R2C_dirReg.kd
    .uniform_work_group_size: 1
    .uses_dynamic_stack: false
    .vgpr_count:     100
    .vgpr_spill_count: 0
    .wavefront_size: 32
    .workgroup_processor_mode: 1
amdhsa.target:   amdgcn-amd-amdhsa--gfx1030
amdhsa.version:
  - 1
  - 2
...

	.end_amdgpu_metadata
